;; amdgpu-corpus repo=ROCm/rocFFT kind=compiled arch=gfx906 opt=O3
	.text
	.amdgcn_target "amdgcn-amd-amdhsa--gfx906"
	.amdhsa_code_object_version 6
	.protected	fft_rtc_fwd_len4096_factors_16_16_16_wgs_256_tpt_256_halfLds_half_op_CI_CI_sbrr_dirReg ; -- Begin function fft_rtc_fwd_len4096_factors_16_16_16_wgs_256_tpt_256_halfLds_half_op_CI_CI_sbrr_dirReg
	.globl	fft_rtc_fwd_len4096_factors_16_16_16_wgs_256_tpt_256_halfLds_half_op_CI_CI_sbrr_dirReg
	.p2align	8
	.type	fft_rtc_fwd_len4096_factors_16_16_16_wgs_256_tpt_256_halfLds_half_op_CI_CI_sbrr_dirReg,@function
fft_rtc_fwd_len4096_factors_16_16_16_wgs_256_tpt_256_halfLds_half_op_CI_CI_sbrr_dirReg: ; @fft_rtc_fwd_len4096_factors_16_16_16_wgs_256_tpt_256_halfLds_half_op_CI_CI_sbrr_dirReg
; %bb.0:
	s_load_dwordx4 s[16:19], s[4:5], 0x18
	s_load_dwordx4 s[12:15], s[4:5], 0x0
	;; [unrolled: 1-line block ×3, first 2 shown]
	v_mov_b32_e32 v7, 0
	v_mov_b32_e32 v5, 0
	s_waitcnt lgkmcnt(0)
	s_load_dwordx2 s[20:21], s[16:17], 0x0
	s_load_dwordx2 s[2:3], s[18:19], 0x0
	v_cmp_lt_u64_e64 s[0:1], s[14:15], 2
	v_mov_b32_e32 v9, s6
	v_mov_b32_e32 v10, v7
	s_and_b64 vcc, exec, s[0:1]
	v_mov_b32_e32 v6, 0
	s_cbranch_vccnz .LBB0_8
; %bb.1:
	s_load_dwordx2 s[0:1], s[4:5], 0x10
	s_add_u32 s6, s18, 8
	s_addc_u32 s7, s19, 0
	s_add_u32 s22, s16, 8
	s_addc_u32 s23, s17, 0
	v_mov_b32_e32 v5, 0
	s_waitcnt lgkmcnt(0)
	s_add_u32 s24, s0, 8
	v_mov_b32_e32 v6, 0
	v_mov_b32_e32 v1, v5
	s_addc_u32 s25, s1, 0
	s_mov_b64 s[26:27], 1
	v_mov_b32_e32 v2, v6
.LBB0_2:                                ; =>This Inner Loop Header: Depth=1
	s_load_dwordx2 s[28:29], s[24:25], 0x0
                                        ; implicit-def: $vgpr3_vgpr4
	s_waitcnt lgkmcnt(0)
	v_or_b32_e32 v8, s29, v10
	v_cmp_ne_u64_e32 vcc, 0, v[7:8]
	s_and_saveexec_b64 s[0:1], vcc
	s_xor_b64 s[30:31], exec, s[0:1]
	s_cbranch_execz .LBB0_4
; %bb.3:                                ;   in Loop: Header=BB0_2 Depth=1
	v_cvt_f32_u32_e32 v3, s28
	v_cvt_f32_u32_e32 v4, s29
	s_sub_u32 s0, 0, s28
	s_subb_u32 s1, 0, s29
	v_mac_f32_e32 v3, 0x4f800000, v4
	v_rcp_f32_e32 v3, v3
	v_mul_f32_e32 v3, 0x5f7ffffc, v3
	v_mul_f32_e32 v4, 0x2f800000, v3
	v_trunc_f32_e32 v4, v4
	v_mac_f32_e32 v3, 0xcf800000, v4
	v_cvt_u32_f32_e32 v4, v4
	v_cvt_u32_f32_e32 v3, v3
	v_mul_lo_u32 v8, s0, v4
	v_mul_hi_u32 v11, s0, v3
	v_mul_lo_u32 v13, s1, v3
	v_mul_lo_u32 v12, s0, v3
	v_add_u32_e32 v8, v11, v8
	v_add_u32_e32 v8, v8, v13
	v_mul_hi_u32 v11, v3, v12
	v_mul_lo_u32 v13, v3, v8
	v_mul_hi_u32 v15, v3, v8
	v_mul_hi_u32 v14, v4, v12
	v_mul_lo_u32 v12, v4, v12
	v_mul_hi_u32 v16, v4, v8
	v_add_co_u32_e32 v11, vcc, v11, v13
	v_addc_co_u32_e32 v13, vcc, 0, v15, vcc
	v_mul_lo_u32 v8, v4, v8
	v_add_co_u32_e32 v11, vcc, v11, v12
	v_addc_co_u32_e32 v11, vcc, v13, v14, vcc
	v_addc_co_u32_e32 v12, vcc, 0, v16, vcc
	v_add_co_u32_e32 v8, vcc, v11, v8
	v_addc_co_u32_e32 v11, vcc, 0, v12, vcc
	v_add_co_u32_e32 v3, vcc, v3, v8
	v_addc_co_u32_e32 v4, vcc, v4, v11, vcc
	v_mul_lo_u32 v8, s0, v4
	v_mul_hi_u32 v11, s0, v3
	v_mul_lo_u32 v12, s1, v3
	v_mul_lo_u32 v13, s0, v3
	v_add_u32_e32 v8, v11, v8
	v_add_u32_e32 v8, v8, v12
	v_mul_lo_u32 v14, v3, v8
	v_mul_hi_u32 v15, v3, v13
	v_mul_hi_u32 v16, v3, v8
	;; [unrolled: 1-line block ×3, first 2 shown]
	v_mul_lo_u32 v13, v4, v13
	v_mul_hi_u32 v11, v4, v8
	v_add_co_u32_e32 v14, vcc, v15, v14
	v_addc_co_u32_e32 v15, vcc, 0, v16, vcc
	v_mul_lo_u32 v8, v4, v8
	v_add_co_u32_e32 v13, vcc, v14, v13
	v_addc_co_u32_e32 v12, vcc, v15, v12, vcc
	v_addc_co_u32_e32 v11, vcc, 0, v11, vcc
	v_add_co_u32_e32 v8, vcc, v12, v8
	v_addc_co_u32_e32 v11, vcc, 0, v11, vcc
	v_add_co_u32_e32 v8, vcc, v3, v8
	v_addc_co_u32_e32 v11, vcc, v4, v11, vcc
	v_mad_u64_u32 v[3:4], s[0:1], v9, v11, 0
	v_mul_hi_u32 v12, v9, v8
	v_add_co_u32_e32 v13, vcc, v12, v3
	v_addc_co_u32_e32 v14, vcc, 0, v4, vcc
	v_mad_u64_u32 v[3:4], s[0:1], v10, v8, 0
	v_mad_u64_u32 v[11:12], s[0:1], v10, v11, 0
	v_add_co_u32_e32 v3, vcc, v13, v3
	v_addc_co_u32_e32 v3, vcc, v14, v4, vcc
	v_addc_co_u32_e32 v4, vcc, 0, v12, vcc
	v_add_co_u32_e32 v8, vcc, v3, v11
	v_addc_co_u32_e32 v11, vcc, 0, v4, vcc
	v_mul_lo_u32 v12, s29, v8
	v_mul_lo_u32 v13, s28, v11
	v_mad_u64_u32 v[3:4], s[0:1], s28, v8, 0
	v_add3_u32 v4, v4, v13, v12
	v_sub_u32_e32 v12, v10, v4
	v_mov_b32_e32 v13, s29
	v_sub_co_u32_e32 v3, vcc, v9, v3
	v_subb_co_u32_e64 v12, s[0:1], v12, v13, vcc
	v_subrev_co_u32_e64 v13, s[0:1], s28, v3
	v_subbrev_co_u32_e64 v12, s[0:1], 0, v12, s[0:1]
	v_cmp_le_u32_e64 s[0:1], s29, v12
	v_cndmask_b32_e64 v14, 0, -1, s[0:1]
	v_cmp_le_u32_e64 s[0:1], s28, v13
	v_cndmask_b32_e64 v13, 0, -1, s[0:1]
	v_cmp_eq_u32_e64 s[0:1], s29, v12
	v_cndmask_b32_e64 v12, v14, v13, s[0:1]
	v_add_co_u32_e64 v13, s[0:1], 2, v8
	v_addc_co_u32_e64 v14, s[0:1], 0, v11, s[0:1]
	v_add_co_u32_e64 v15, s[0:1], 1, v8
	v_addc_co_u32_e64 v16, s[0:1], 0, v11, s[0:1]
	v_subb_co_u32_e32 v4, vcc, v10, v4, vcc
	v_cmp_ne_u32_e64 s[0:1], 0, v12
	v_cmp_le_u32_e32 vcc, s29, v4
	v_cndmask_b32_e64 v12, v16, v14, s[0:1]
	v_cndmask_b32_e64 v14, 0, -1, vcc
	v_cmp_le_u32_e32 vcc, s28, v3
	v_cndmask_b32_e64 v3, 0, -1, vcc
	v_cmp_eq_u32_e32 vcc, s29, v4
	v_cndmask_b32_e32 v3, v14, v3, vcc
	v_cmp_ne_u32_e32 vcc, 0, v3
	v_cndmask_b32_e64 v3, v15, v13, s[0:1]
	v_cndmask_b32_e32 v4, v11, v12, vcc
	v_cndmask_b32_e32 v3, v8, v3, vcc
.LBB0_4:                                ;   in Loop: Header=BB0_2 Depth=1
	s_andn2_saveexec_b64 s[0:1], s[30:31]
	s_cbranch_execz .LBB0_6
; %bb.5:                                ;   in Loop: Header=BB0_2 Depth=1
	v_cvt_f32_u32_e32 v3, s28
	s_sub_i32 s30, 0, s28
	v_rcp_iflag_f32_e32 v3, v3
	v_mul_f32_e32 v3, 0x4f7ffffe, v3
	v_cvt_u32_f32_e32 v3, v3
	v_mul_lo_u32 v4, s30, v3
	v_mul_hi_u32 v4, v3, v4
	v_add_u32_e32 v3, v3, v4
	v_mul_hi_u32 v3, v9, v3
	v_mul_lo_u32 v4, v3, s28
	v_add_u32_e32 v8, 1, v3
	v_sub_u32_e32 v4, v9, v4
	v_subrev_u32_e32 v11, s28, v4
	v_cmp_le_u32_e32 vcc, s28, v4
	v_cndmask_b32_e32 v4, v4, v11, vcc
	v_cndmask_b32_e32 v3, v3, v8, vcc
	v_add_u32_e32 v8, 1, v3
	v_cmp_le_u32_e32 vcc, s28, v4
	v_cndmask_b32_e32 v3, v3, v8, vcc
	v_mov_b32_e32 v4, v7
.LBB0_6:                                ;   in Loop: Header=BB0_2 Depth=1
	s_or_b64 exec, exec, s[0:1]
	v_mul_lo_u32 v8, v4, s28
	v_mul_lo_u32 v13, v3, s29
	v_mad_u64_u32 v[11:12], s[0:1], v3, s28, 0
	s_load_dwordx2 s[0:1], s[22:23], 0x0
	s_load_dwordx2 s[28:29], s[6:7], 0x0
	v_add3_u32 v8, v12, v13, v8
	v_sub_co_u32_e32 v9, vcc, v9, v11
	v_subb_co_u32_e32 v8, vcc, v10, v8, vcc
	s_waitcnt lgkmcnt(0)
	v_mul_lo_u32 v10, s0, v8
	v_mul_lo_u32 v11, s1, v9
	v_mad_u64_u32 v[5:6], s[0:1], s0, v9, v[5:6]
	v_mul_lo_u32 v8, s28, v8
	v_mul_lo_u32 v12, s29, v9
	v_mad_u64_u32 v[1:2], s[0:1], s28, v9, v[1:2]
	s_add_u32 s26, s26, 1
	s_addc_u32 s27, s27, 0
	s_add_u32 s6, s6, 8
	v_add3_u32 v2, v12, v2, v8
	s_addc_u32 s7, s7, 0
	v_mov_b32_e32 v8, s14
	s_add_u32 s22, s22, 8
	v_mov_b32_e32 v9, s15
	s_addc_u32 s23, s23, 0
	v_cmp_ge_u64_e32 vcc, s[26:27], v[8:9]
	s_add_u32 s24, s24, 8
	v_add3_u32 v6, v11, v6, v10
	s_addc_u32 s25, s25, 0
	s_cbranch_vccnz .LBB0_9
; %bb.7:                                ;   in Loop: Header=BB0_2 Depth=1
	v_mov_b32_e32 v10, v4
	v_mov_b32_e32 v9, v3
	s_branch .LBB0_2
.LBB0_8:
	v_mov_b32_e32 v1, v5
	v_mov_b32_e32 v3, v9
	;; [unrolled: 1-line block ×4, first 2 shown]
.LBB0_9:
	s_load_dwordx2 s[0:1], s[4:5], 0x28
	s_lshl_b64 s[14:15], s[14:15], 3
	s_add_u32 s4, s18, s14
	s_addc_u32 s5, s19, s15
                                        ; implicit-def: $sgpr18
	s_waitcnt lgkmcnt(0)
	v_cmp_gt_u64_e32 vcc, s[0:1], v[3:4]
	v_cmp_le_u64_e64 s[0:1], s[0:1], v[3:4]
	s_and_saveexec_b64 s[6:7], s[0:1]
	s_xor_b64 s[0:1], exec, s[6:7]
; %bb.10:
	s_mov_b32 s18, 0
                                        ; implicit-def: $vgpr5_vgpr6
; %bb.11:
	s_or_saveexec_b64 s[6:7], s[0:1]
	v_mov_b32_e32 v7, s18
	v_mov_b32_e32 v24, s18
	v_mov_b32_e32 v25, s18
	v_mov_b32_e32 v22, s18
	v_mov_b32_e32 v26, s18
	v_mov_b32_e32 v19, s18
	v_mov_b32_e32 v20, s18
	v_mov_b32_e32 v16, s18
	v_mov_b32_e32 v27, s18
                                        ; implicit-def: $vgpr29
                                        ; implicit-def: $vgpr13
                                        ; implicit-def: $vgpr18
                                        ; implicit-def: $vgpr9
                                        ; implicit-def: $vgpr28
                                        ; implicit-def: $vgpr12
                                        ; implicit-def: $vgpr17
                                        ; implicit-def: $vgpr8
                                        ; implicit-def: $vgpr31
                                        ; implicit-def: $vgpr15
                                        ; implicit-def: $vgpr23
                                        ; implicit-def: $vgpr11
                                        ; implicit-def: $vgpr30
                                        ; implicit-def: $vgpr14
                                        ; implicit-def: $vgpr21
                                        ; implicit-def: $vgpr10
	s_xor_b64 exec, exec, s[6:7]
	s_cbranch_execz .LBB0_13
; %bb.12:
	s_add_u32 s0, s16, s14
	s_addc_u32 s1, s17, s15
	s_load_dwordx2 s[0:1], s[0:1], 0x0
	v_mad_u64_u32 v[7:8], s[14:15], s20, v0, 0
	v_lshlrev_b64 v[5:6], 2, v[5:6]
	s_waitcnt lgkmcnt(0)
	v_mul_lo_u32 v13, s1, v3
	v_mul_lo_u32 v14, s0, v4
	v_mad_u64_u32 v[9:10], s[0:1], s0, v3, 0
	v_mad_u64_u32 v[11:12], s[0:1], s21, v0, v[8:9]
	v_add3_u32 v10, v10, v14, v13
	v_lshlrev_b64 v[9:10], 2, v[9:10]
	v_mov_b32_e32 v8, v11
	v_mov_b32_e32 v11, s9
	v_add_co_u32_e64 v12, s[0:1], s8, v9
	v_or_b32_e32 v13, 0x100, v0
	v_addc_co_u32_e64 v11, s[0:1], v11, v10, s[0:1]
	v_mad_u64_u32 v[9:10], s[0:1], s20, v13, 0
	v_add_co_u32_e64 v15, s[0:1], v12, v5
	v_addc_co_u32_e64 v16, s[0:1], v11, v6, s[0:1]
	v_lshlrev_b64 v[5:6], 2, v[7:8]
	v_mov_b32_e32 v7, v10
	v_mad_u64_u32 v[7:8], s[0:1], s21, v13, v[7:8]
	v_or_b32_e32 v13, 0x200, v0
	v_mad_u64_u32 v[11:12], s[0:1], s20, v13, 0
	v_mov_b32_e32 v10, v7
	v_add_co_u32_e64 v5, s[0:1], v15, v5
	v_lshlrev_b64 v[7:8], 2, v[9:10]
	v_mov_b32_e32 v9, v12
	v_addc_co_u32_e64 v6, s[0:1], v16, v6, s[0:1]
	v_mad_u64_u32 v[9:10], s[0:1], s21, v13, v[9:10]
	v_or_b32_e32 v10, 0x300, v0
	v_mad_u64_u32 v[13:14], s[0:1], s20, v10, 0
	v_add_co_u32_e64 v17, s[0:1], v15, v7
	v_mov_b32_e32 v12, v9
	v_mov_b32_e32 v9, v14
	v_addc_co_u32_e64 v18, s[0:1], v16, v8, s[0:1]
	v_lshlrev_b64 v[7:8], 2, v[11:12]
	v_mad_u64_u32 v[9:10], s[0:1], s21, v10, v[9:10]
	v_or_b32_e32 v12, 0x400, v0
	v_mad_u64_u32 v[10:11], s[0:1], s20, v12, 0
	v_add_co_u32_e64 v27, s[0:1], v15, v7
	v_mov_b32_e32 v14, v9
	v_mov_b32_e32 v9, v11
	v_addc_co_u32_e64 v28, s[0:1], v16, v8, s[0:1]
	v_lshlrev_b64 v[7:8], 2, v[13:14]
	v_mad_u64_u32 v[11:12], s[0:1], s21, v12, v[9:10]
	v_or_b32_e32 v14, 0x500, v0
	v_mad_u64_u32 v[12:13], s[0:1], s20, v14, 0
	v_add_co_u32_e64 v29, s[0:1], v15, v7
	v_mov_b32_e32 v9, v13
	v_addc_co_u32_e64 v30, s[0:1], v16, v8, s[0:1]
	v_lshlrev_b64 v[7:8], 2, v[10:11]
	v_mad_u64_u32 v[9:10], s[0:1], s21, v14, v[9:10]
	v_or_b32_e32 v14, 0x600, v0
	v_mad_u64_u32 v[10:11], s[0:1], s20, v14, 0
	v_add_co_u32_e64 v31, s[0:1], v15, v7
	v_mov_b32_e32 v13, v9
	v_mov_b32_e32 v9, v11
	v_addc_co_u32_e64 v32, s[0:1], v16, v8, s[0:1]
	v_lshlrev_b64 v[7:8], 2, v[12:13]
	v_mad_u64_u32 v[11:12], s[0:1], s21, v14, v[9:10]
	v_or_b32_e32 v14, 0x700, v0
	v_mad_u64_u32 v[12:13], s[0:1], s20, v14, 0
	v_add_co_u32_e64 v33, s[0:1], v15, v7
	;; [unrolled: 15-line block ×6, first 2 shown]
	v_mov_b32_e32 v9, v13
	v_addc_co_u32_e64 v50, s[0:1], v16, v8, s[0:1]
	v_lshlrev_b64 v[7:8], 2, v[10:11]
	v_mad_u64_u32 v[9:10], s[0:1], s21, v14, v[9:10]
	v_add_co_u32_e64 v51, s[0:1], v15, v7
	v_mov_b32_e32 v13, v9
	v_addc_co_u32_e64 v52, s[0:1], v16, v8, s[0:1]
	v_lshlrev_b64 v[7:8], 2, v[12:13]
	v_add_co_u32_e64 v53, s[0:1], v15, v7
	v_addc_co_u32_e64 v54, s[0:1], v16, v8, s[0:1]
	global_load_dword v13, v[39:40], off
	global_load_dword v9, v[41:42], off
	;; [unrolled: 1-line block ×15, first 2 shown]
                                        ; kill: killed $vgpr27 killed $vgpr28
                                        ; kill: killed $vgpr39 killed $vgpr40
                                        ; kill: killed $vgpr29 killed $vgpr30
                                        ; kill: killed $vgpr31 killed $vgpr32
                                        ; kill: killed $vgpr33 killed $vgpr34
                                        ; kill: killed $vgpr41 killed $vgpr42
                                        ; kill: killed $vgpr43 killed $vgpr44
                                        ; kill: killed $vgpr45 killed $vgpr46
                                        ; kill: killed $vgpr47 killed $vgpr48
                                        ; kill: killed $vgpr49 killed $vgpr50
                                        ; kill: killed $vgpr51 killed $vgpr52
                                        ; kill: killed $vgpr53 killed $vgpr54
                                        ; kill: killed $vgpr5 killed $vgpr6
                                        ; kill: killed $vgpr35 killed $vgpr36
                                        ; kill: killed $vgpr17 killed $vgpr18
	s_nop 0
	global_load_dword v27, v[37:38], off
	v_mov_b32_e32 v7, v0
	s_waitcnt vmcnt(15)
	v_lshrrev_b32_e32 v29, 16, v13
	s_waitcnt vmcnt(14)
	v_lshrrev_b32_e32 v18, 16, v9
	;; [unrolled: 2-line block ×8, first 2 shown]
.LBB0_13:
	s_or_b64 exec, exec, s[6:7]
	s_waitcnt vmcnt(7)
	v_lshrrev_b32_e32 v5, 16, v24
	v_sub_f16_e32 v6, v24, v13
	v_sub_f16_e32 v13, v5, v29
	s_waitcnt vmcnt(3)
	v_lshrrev_b32_e32 v29, 16, v25
	s_waitcnt vmcnt(1)
	v_lshrrev_b32_e32 v33, 16, v26
	v_sub_f16_e32 v31, v29, v31
	v_lshrrev_b32_e32 v32, 16, v22
	v_sub_f16_e32 v12, v22, v12
	v_sub_f16_e32 v30, v33, v30
	v_lshrrev_b32_e32 v34, 16, v19
	v_lshrrev_b32_e32 v35, 16, v20
	;; [unrolled: 1-line block ×3, first 2 shown]
	s_waitcnt vmcnt(0)
	v_lshrrev_b32_e32 v37, 16, v27
	v_sub_f16_e32 v15, v25, v15
	v_fma_f16 v29, v29, 2.0, -v31
	v_sub_f16_e32 v28, v32, v28
	v_sub_f16_e32 v14, v26, v14
	v_fma_f16 v33, v33, 2.0, -v30
	v_sub_f16_e32 v18, v34, v18
	v_sub_f16_e32 v23, v35, v23
	;; [unrolled: 1-line block ×6, first 2 shown]
	s_load_dwordx2 s[0:1], s[4:5], 0x0
	v_fma_f16 v24, v24, 2.0, -v6
	v_fma_f16 v5, v5, 2.0, -v13
	;; [unrolled: 1-line block ×6, first 2 shown]
	v_sub_f16_e32 v9, v19, v9
	v_fma_f16 v34, v34, 2.0, -v18
	v_fma_f16 v35, v35, 2.0, -v23
	v_sub_f16_e32 v8, v16, v8
	v_fma_f16 v36, v36, 2.0, -v17
	v_fma_f16 v37, v37, 2.0, -v21
	v_add_f16_e32 v15, v13, v15
	v_fma_f16 v6, v6, 2.0, -v31
	v_add_f16_e32 v14, v28, v14
	v_fma_f16 v12, v12, 2.0, -v30
	s_mov_b32 s4, 0xb9a8
	v_sub_f16_e32 v11, v20, v11
	v_sub_f16_e32 v10, v27, v10
	;; [unrolled: 1-line block ×3, first 2 shown]
	v_fma_f16 v13, v13, 2.0, -v15
	v_sub_f16_e32 v33, v32, v33
	v_fma_f16 v28, v28, 2.0, -v14
	v_sub_f16_e32 v35, v34, v35
	v_sub_f16_e32 v23, v9, v23
	;; [unrolled: 1-line block ×4, first 2 shown]
	v_fma_f16 v38, v12, s4, v6
	s_movk_i32 s5, 0x39a8
	v_fma_f16 v19, v19, 2.0, -v9
	v_fma_f16 v20, v20, 2.0, -v11
	;; [unrolled: 1-line block ×7, first 2 shown]
	v_add_f16_e32 v11, v18, v11
	v_fma_f16 v9, v9, 2.0, -v23
	v_fma_f16 v36, v36, 2.0, -v37
	v_add_f16_e32 v10, v17, v10
	v_fma_f16 v8, v8, 2.0, -v21
	v_fma_f16 v39, v28, s4, v13
	v_fma_f16 v28, v28, s4, v38
	;; [unrolled: 1-line block ×3, first 2 shown]
	v_fma_f16 v18, v18, 2.0, -v11
	v_fma_f16 v17, v17, 2.0, -v10
	v_sub_f16_e32 v32, v5, v32
	v_fma_f16 v12, v12, s5, v39
	v_fma_f16 v39, v14, s5, v15
	;; [unrolled: 1-line block ×3, first 2 shown]
	v_sub_f16_e32 v36, v34, v36
	v_fma_f16 v38, v8, s4, v9
	v_sub_f16_e32 v25, v24, v25
	v_sub_f16_e32 v20, v19, v20
	v_fma_f16 v5, v5, 2.0, -v32
	v_fma_f16 v30, v30, s5, v39
	v_fma_f16 v34, v34, 2.0, -v36
	v_fma_f16 v39, v17, s4, v18
	v_fma_f16 v17, v17, s4, v38
	v_sub_f16_e32 v26, v22, v26
	v_sub_f16_e32 v27, v16, v27
	v_fma_f16 v6, v6, 2.0, -v28
	v_sub_f16_e32 v33, v25, v33
	v_fma_f16 v8, v8, s5, v39
	v_fma_f16 v9, v9, 2.0, -v17
	v_sub_f16_e32 v37, v20, v37
	v_fma_f16 v38, v21, s5, v23
	v_sub_f16_e32 v34, v5, v34
	s_mov_b32 s6, 0xbb64
	v_fma_f16 v24, v24, 2.0, -v25
	v_fma_f16 v22, v22, 2.0, -v26
	;; [unrolled: 1-line block ×5, first 2 shown]
	v_add_f16_e32 v26, v29, v26
	v_fma_f16 v25, v25, 2.0, -v33
	v_fma_f16 v18, v18, 2.0, -v8
	v_add_f16_e32 v27, v35, v27
	v_fma_f16 v20, v20, 2.0, -v37
	v_fma_f16 v39, v10, s5, v11
	v_fma_f16 v10, v10, s4, v38
	v_fma_f16 v38, v5, 2.0, -v34
	v_fma_f16 v5, v9, s6, v6
	s_mov_b32 s8, 0xb61f
	v_fma_f16 v29, v29, 2.0, -v26
	v_fma_f16 v31, v31, 2.0, -v14
	;; [unrolled: 1-line block ×3, first 2 shown]
	v_fma_f16 v21, v21, s5, v39
	v_fma_f16 v23, v23, 2.0, -v10
	v_fma_f16 v39, v18, s6, v13
	v_fma_f16 v18, v18, s8, v5
	s_movk_i32 s7, 0x361f
	v_fma_f16 v5, v20, s4, v25
	v_fma_f16 v15, v15, 2.0, -v30
	v_fma_f16 v11, v11, 2.0, -v21
	v_fma_f16 v9, v9, s7, v39
	v_fma_f16 v39, v35, s4, v29
	;; [unrolled: 1-line block ×4, first 2 shown]
	v_sub_f16_e32 v22, v24, v22
	v_sub_f16_e32 v16, v19, v16
	v_fma_f16 v20, v20, s5, v39
	v_fma_f16 v39, v11, s8, v15
	;; [unrolled: 1-line block ×3, first 2 shown]
	s_movk_i32 s9, 0x3b64
	v_fma_f16 v5, v17, s7, v28
	v_fma_f16 v24, v24, 2.0, -v22
	v_fma_f16 v19, v19, 2.0, -v16
	v_fma_f16 v23, v23, s9, v39
	v_fma_f16 v39, v8, s7, v12
	;; [unrolled: 1-line block ×4, first 2 shown]
	v_sub_f16_e32 v19, v24, v19
	v_fma_f16 v17, v17, s9, v39
	v_fma_f16 v39, v27, s5, v26
	;; [unrolled: 1-line block ×4, first 2 shown]
	v_fma_f16 v24, v24, 2.0, -v19
	v_fma_f16 v6, v6, 2.0, -v18
	;; [unrolled: 1-line block ×4, first 2 shown]
	v_sub_f16_e32 v36, v22, v36
	v_fma_f16 v37, v37, s5, v39
	v_fma_f16 v39, v21, s9, v30
	;; [unrolled: 1-line block ×3, first 2 shown]
	v_fma_f16 v22, v22, 2.0, -v36
	v_fma_f16 v28, v28, 2.0, -v8
	;; [unrolled: 1-line block ×4, first 2 shown]
	v_lshl_add_u32 v5, v0, 5, 0
	v_pack_b32_f16 v25, v25, v31
	v_pack_b32_f16 v6, v24, v6
	ds_write2_b32 v5, v6, v25 offset1:1
	v_pack_b32_f16 v6, v33, v14
	v_pack_b32_f16 v14, v22, v28
	ds_write2_b32 v5, v14, v6 offset0:2 offset1:3
	v_pack_b32_f16 v6, v35, v11
	v_pack_b32_f16 v11, v19, v18
	v_fma_f16 v13, v13, 2.0, -v9
	v_fma_f16 v29, v29, 2.0, -v20
	v_fma_f16 v15, v15, 2.0, -v23
	v_add_f16_e32 v16, v32, v16
	v_fma_f16 v10, v10, s7, v39
	ds_write2_b32 v5, v11, v6 offset0:4 offset1:5
	v_pack_b32_f16 v6, v27, v21
	v_pack_b32_f16 v8, v36, v8
	s_movk_i32 s14, 0xffe2
	v_fma_f16 v32, v32, 2.0, -v16
	v_fma_f16 v12, v12, 2.0, -v17
	;; [unrolled: 1-line block ×4, first 2 shown]
	ds_write2_b32 v5, v8, v6 offset0:6 offset1:7
	v_mad_i32_i24 v24, v0, s14, v5
	v_pack_b32_f16 v8, v29, v15
	v_pack_b32_f16 v11, v38, v13
	s_waitcnt lgkmcnt(0)
	s_barrier
	ds_read_u16 v6, v24
	ds_read_u16 v18, v24 offset:512
	ds_read_u16 v19, v24 offset:1024
	;; [unrolled: 1-line block ×15, first 2 shown]
	s_waitcnt lgkmcnt(0)
	s_barrier
	ds_write2_b32 v5, v11, v8 offset1:1
	v_pack_b32_f16 v8, v26, v30
	v_pack_b32_f16 v11, v32, v12
	ds_write2_b32 v5, v11, v8 offset0:2 offset1:3
	v_pack_b32_f16 v8, v20, v23
	v_pack_b32_f16 v9, v34, v9
	ds_write2_b32 v5, v9, v8 offset0:4 offset1:5
	;; [unrolled: 3-line block ×3, first 2 shown]
	v_and_b32_e32 v8, 15, v0
	v_mul_u32_u24_e32 v8, 15, v8
	v_lshlrev_b32_e32 v16, 2, v8
	s_waitcnt lgkmcnt(0)
	s_barrier
	global_load_dwordx4 v[8:11], v16, s[12:13]
	global_load_dwordx4 v[12:15], v16, s[12:13] offset:16
	ds_read_u16 v17, v24 offset:512
	ds_read_u16 v20, v24 offset:1024
	;; [unrolled: 1-line block ×7, first 2 shown]
	ds_read_u16 v34, v24
	s_waitcnt vmcnt(1) lgkmcnt(7)
	v_mul_f16_sdwa v37, v17, v8 dst_sel:DWORD dst_unused:UNUSED_PAD src0_sel:DWORD src1_sel:WORD_1
	v_fma_f16 v37, v18, v8, -v37
	v_mul_f16_sdwa v18, v18, v8 dst_sel:DWORD dst_unused:UNUSED_PAD src0_sel:DWORD src1_sel:WORD_1
	v_fma_f16 v17, v17, v8, v18
	s_waitcnt lgkmcnt(6)
	v_mul_f16_sdwa v8, v20, v9 dst_sel:DWORD dst_unused:UNUSED_PAD src0_sel:DWORD src1_sel:WORD_1
	v_fma_f16 v18, v19, v9, -v8
	v_mul_f16_sdwa v8, v19, v9 dst_sel:DWORD dst_unused:UNUSED_PAD src0_sel:DWORD src1_sel:WORD_1
	v_fma_f16 v19, v20, v9, v8
	s_waitcnt lgkmcnt(5)
	;; [unrolled: 5-line block ×3, first 2 shown]
	v_mul_f16_sdwa v8, v26, v11 dst_sel:DWORD dst_unused:UNUSED_PAD src0_sel:DWORD src1_sel:WORD_1
	v_fma_f16 v23, v22, v11, -v8
	v_mul_f16_sdwa v8, v22, v11 dst_sel:DWORD dst_unused:UNUSED_PAD src0_sel:DWORD src1_sel:WORD_1
	v_fma_f16 v22, v26, v11, v8
	s_waitcnt vmcnt(0) lgkmcnt(3)
	v_mul_f16_sdwa v8, v29, v12 dst_sel:DWORD dst_unused:UNUSED_PAD src0_sel:DWORD src1_sel:WORD_1
	v_fma_f16 v26, v25, v12, -v8
	v_mul_f16_sdwa v8, v25, v12 dst_sel:DWORD dst_unused:UNUSED_PAD src0_sel:DWORD src1_sel:WORD_1
	v_fma_f16 v25, v29, v12, v8
	s_waitcnt lgkmcnt(2)
	v_mul_f16_sdwa v8, v30, v13 dst_sel:DWORD dst_unused:UNUSED_PAD src0_sel:DWORD src1_sel:WORD_1
	v_fma_f16 v29, v27, v13, -v8
	v_mul_f16_sdwa v8, v27, v13 dst_sel:DWORD dst_unused:UNUSED_PAD src0_sel:DWORD src1_sel:WORD_1
	v_fma_f16 v27, v30, v13, v8
	s_waitcnt lgkmcnt(1)
	v_mul_f16_sdwa v8, v32, v14 dst_sel:DWORD dst_unused:UNUSED_PAD src0_sel:DWORD src1_sel:WORD_1
	v_fma_f16 v30, v28, v14, -v8
	v_mul_f16_sdwa v8, v28, v14 dst_sel:DWORD dst_unused:UNUSED_PAD src0_sel:DWORD src1_sel:WORD_1
	v_fma_f16 v28, v32, v14, v8
	ds_read_u16 v8, v24 offset:4096
	ds_read_u16 v32, v24 offset:4608
	;; [unrolled: 1-line block ×8, first 2 shown]
	s_waitcnt lgkmcnt(7)
	v_mul_f16_sdwa v9, v8, v15 dst_sel:DWORD dst_unused:UNUSED_PAD src0_sel:DWORD src1_sel:WORD_1
	v_fma_f16 v48, v31, v15, -v9
	v_mul_f16_sdwa v9, v31, v15 dst_sel:DWORD dst_unused:UNUSED_PAD src0_sel:DWORD src1_sel:WORD_1
	v_fma_f16 v15, v8, v15, v9
	global_load_dwordx4 v[8:11], v16, s[12:13] offset:32
	global_load_dwordx3 v[12:14], v16, s[12:13] offset:48
	v_sub_f16_e32 v15, v34, v15
	v_fma_f16 v34, v34, 2.0, -v15
	s_waitcnt vmcnt(0) lgkmcnt(0)
	s_barrier
	v_mul_f16_sdwa v16, v32, v8 dst_sel:DWORD dst_unused:UNUSED_PAD src0_sel:DWORD src1_sel:WORD_1
	v_mul_f16_sdwa v31, v33, v8 dst_sel:DWORD dst_unused:UNUSED_PAD src0_sel:DWORD src1_sel:WORD_1
	v_fma_f16 v16, v33, v8, -v16
	v_fma_f16 v8, v32, v8, v31
	v_mul_f16_sdwa v31, v38, v9 dst_sel:DWORD dst_unused:UNUSED_PAD src0_sel:DWORD src1_sel:WORD_1
	v_mul_f16_sdwa v32, v35, v9 dst_sel:DWORD dst_unused:UNUSED_PAD src0_sel:DWORD src1_sel:WORD_1
	v_fma_f16 v31, v35, v9, -v31
	v_fma_f16 v9, v38, v9, v32
	v_mul_f16_sdwa v32, v43, v10 dst_sel:DWORD dst_unused:UNUSED_PAD src0_sel:DWORD src1_sel:WORD_1
	v_mul_f16_sdwa v33, v36, v10 dst_sel:DWORD dst_unused:UNUSED_PAD src0_sel:DWORD src1_sel:WORD_1
	v_fma_f16 v32, v36, v10, -v32
	v_fma_f16 v10, v43, v10, v33
	v_mul_f16_sdwa v33, v44, v11 dst_sel:DWORD dst_unused:UNUSED_PAD src0_sel:DWORD src1_sel:WORD_1
	v_mul_f16_sdwa v35, v39, v11 dst_sel:DWORD dst_unused:UNUSED_PAD src0_sel:DWORD src1_sel:WORD_1
	v_fma_f16 v33, v39, v11, -v33
	v_fma_f16 v11, v44, v11, v35
	v_mul_f16_sdwa v35, v45, v12 dst_sel:DWORD dst_unused:UNUSED_PAD src0_sel:DWORD src1_sel:WORD_1
	v_mul_f16_sdwa v36, v40, v12 dst_sel:DWORD dst_unused:UNUSED_PAD src0_sel:DWORD src1_sel:WORD_1
	v_fma_f16 v35, v40, v12, -v35
	v_fma_f16 v12, v45, v12, v36
	v_mul_f16_sdwa v36, v46, v13 dst_sel:DWORD dst_unused:UNUSED_PAD src0_sel:DWORD src1_sel:WORD_1
	v_mul_f16_sdwa v38, v41, v13 dst_sel:DWORD dst_unused:UNUSED_PAD src0_sel:DWORD src1_sel:WORD_1
	v_fma_f16 v36, v41, v13, -v36
	v_fma_f16 v13, v46, v13, v38
	v_mul_f16_sdwa v38, v47, v14 dst_sel:DWORD dst_unused:UNUSED_PAD src0_sel:DWORD src1_sel:WORD_1
	v_mul_f16_sdwa v39, v42, v14 dst_sel:DWORD dst_unused:UNUSED_PAD src0_sel:DWORD src1_sel:WORD_1
	v_fma_f16 v38, v42, v14, -v38
	v_fma_f16 v14, v47, v14, v39
	v_sub_f16_e32 v39, v6, v48
	v_sub_f16_e32 v33, v23, v33
	;; [unrolled: 1-line block ×7, first 2 shown]
	v_fma_f16 v23, v23, 2.0, -v33
	v_fma_f16 v22, v22, 2.0, -v11
	;; [unrolled: 1-line block ×4, first 2 shown]
	v_sub_f16_e32 v11, v39, v11
	v_add_f16_e32 v33, v15, v33
	v_sub_f16_e32 v13, v31, v13
	v_add_f16_e32 v36, v9, v36
	v_fma_f16 v6, v6, 2.0, -v39
	v_fma_f16 v18, v18, 2.0, -v31
	;; [unrolled: 1-line block ×3, first 2 shown]
	v_sub_f16_e32 v16, v37, v16
	v_sub_f16_e32 v8, v17, v8
	;; [unrolled: 1-line block ×8, first 2 shown]
	v_fma_f16 v39, v39, 2.0, -v11
	v_fma_f16 v15, v15, 2.0, -v33
	;; [unrolled: 1-line block ×10, first 2 shown]
	v_sub_f16_e32 v12, v16, v12
	v_add_f16_e32 v35, v8, v35
	v_sub_f16_e32 v14, v32, v14
	v_add_f16_e32 v38, v10, v38
	v_fma_f16 v40, v31, s4, v39
	v_fma_f16 v41, v9, s4, v15
	v_fma_f16 v37, v37, 2.0, -v16
	v_fma_f16 v20, v20, 2.0, -v32
	v_sub_f16_e32 v22, v34, v22
	v_sub_f16_e32 v27, v19, v27
	;; [unrolled: 1-line block ×3, first 2 shown]
	v_fma_f16 v16, v16, 2.0, -v12
	v_fma_f16 v8, v8, 2.0, -v35
	v_sub_f16_e32 v28, v21, v28
	v_fma_f16 v32, v32, 2.0, -v14
	v_fma_f16 v10, v10, 2.0, -v38
	v_fma_f16 v9, v9, s4, v40
	v_fma_f16 v31, v31, s5, v41
	;; [unrolled: 1-line block ×4, first 2 shown]
	v_fma_f16 v34, v34, 2.0, -v22
	v_fma_f16 v19, v19, 2.0, -v27
	v_fma_f16 v17, v17, 2.0, -v25
	v_fma_f16 v21, v21, 2.0, -v28
	v_fma_f16 v36, v36, s4, v40
	v_fma_f16 v13, v13, s5, v41
	;; [unrolled: 1-line block ×4, first 2 shown]
	v_sub_f16_e32 v19, v34, v19
	v_sub_f16_e32 v21, v17, v21
	v_fma_f16 v10, v10, s4, v40
	v_fma_f16 v32, v32, s5, v41
	v_sub_f16_e32 v23, v6, v23
	v_sub_f16_e32 v29, v18, v29
	;; [unrolled: 1-line block ×4, first 2 shown]
	v_fma_f16 v34, v34, 2.0, -v19
	v_fma_f16 v39, v39, 2.0, -v9
	;; [unrolled: 1-line block ×6, first 2 shown]
	v_fma_f16 v40, v14, s5, v12
	v_fma_f16 v41, v38, s5, v35
	v_fma_f16 v18, v18, 2.0, -v29
	v_fma_f16 v20, v20, 2.0, -v30
	v_sub_f16_e32 v27, v23, v27
	v_add_f16_e32 v29, v22, v29
	v_sub_f16_e32 v28, v26, v28
	v_add_f16_e32 v30, v25, v30
	v_fma_f16 v38, v38, s4, v40
	v_fma_f16 v14, v14, s5, v41
	v_sub_f16_e32 v40, v34, v17
	v_fma_f16 v17, v16, s6, v39
	v_fma_f16 v41, v8, s6, v15
	v_fma_f16 v6, v6, 2.0, -v23
	v_fma_f16 v37, v37, 2.0, -v26
	;; [unrolled: 1-line block ×6, first 2 shown]
	v_fma_f16 v8, v8, s8, v17
	v_fma_f16 v41, v16, s7, v41
	v_fma_f16 v16, v39, 2.0, -v8
	v_fma_f16 v39, v15, 2.0, -v41
	v_fma_f16 v15, v26, s4, v23
	v_fma_f16 v17, v25, s4, v22
	v_fma_f16 v11, v11, 2.0, -v36
	v_fma_f16 v12, v12, 2.0, -v38
	v_fma_f16 v15, v25, s4, v15
	v_fma_f16 v25, v26, s5, v17
	v_fma_f16 v33, v33, 2.0, -v13
	v_sub_f16_e32 v20, v37, v20
	v_fma_f16 v35, v35, 2.0, -v14
	v_fma_f16 v17, v23, 2.0, -v15
	v_fma_f16 v23, v22, 2.0, -v25
	v_fma_f16 v22, v12, s8, v11
	v_fma_f16 v26, v35, s8, v33
	;; [unrolled: 1-line block ×3, first 2 shown]
	v_add_f16_e32 v35, v19, v20
	v_fma_f16 v37, v37, 2.0, -v20
	v_fma_f16 v42, v19, 2.0, -v35
	v_fma_f16 v19, v10, s7, v9
	v_fma_f16 v20, v32, s7, v31
	;; [unrolled: 1-line block ×8, first 2 shown]
	v_fma_f16 v20, v27, 2.0, -v10
	v_fma_f16 v27, v29, 2.0, -v28
	v_fma_f16 v29, v14, s9, v13
	v_sub_f16_e32 v18, v6, v18
	v_fma_f16 v29, v38, s7, v29
	v_fma_f16 v6, v6, 2.0, -v18
	v_fma_f16 v26, v12, s9, v26
	v_sub_f16_e32 v12, v18, v21
	v_fma_f16 v21, v38, s9, v36
	v_fma_f16 v30, v13, 2.0, -v29
	v_lshl_or_b32 v13, v0, 4, v0
	v_sub_f16_e32 v37, v6, v37
	v_fma_f16 v14, v14, s8, v21
	v_and_b32_e32 v13, 0xf0f, v13
	v_fma_f16 v6, v6, 2.0, -v37
	v_fma_f16 v11, v11, 2.0, -v22
	;; [unrolled: 1-line block ×5, first 2 shown]
	v_lshl_add_u32 v36, v13, 1, 0
	ds_write_b16 v36, v6
	ds_write_b16 v36, v16 offset:32
	ds_write_b16 v36, v17 offset:64
	;; [unrolled: 1-line block ×15, first 2 shown]
	s_waitcnt lgkmcnt(0)
	s_barrier
	ds_read_u16 v6, v24
	ds_read_u16 v16, v24 offset:512
	ds_read_u16 v20, v24 offset:1024
	ds_read_u16 v17, v24 offset:1536
	ds_read_u16 v15, v24 offset:2048
	ds_read_u16 v11, v24 offset:2560
	ds_read_u16 v19, v24 offset:3072
	ds_read_u16 v18, v24 offset:3584
	ds_read_u16 v8, v24 offset:4096
	ds_read_u16 v10, v24 offset:4608
	ds_read_u16 v22, v24 offset:5120
	ds_read_u16 v13, v24 offset:5632
	ds_read_u16 v9, v24 offset:6144
	ds_read_u16 v12, v24 offset:6656
	ds_read_u16 v21, v24 offset:7168
	ds_read_u16 v14, v24 offset:7680
	v_fma_f16 v34, v34, 2.0, -v40
	v_fma_f16 v33, v33, 2.0, -v26
	;; [unrolled: 1-line block ×3, first 2 shown]
	s_waitcnt lgkmcnt(0)
	s_barrier
	ds_write_b16 v36, v34
	ds_write_b16 v36, v39 offset:32
	ds_write_b16 v36, v23 offset:64
	;; [unrolled: 1-line block ×15, first 2 shown]
	s_waitcnt lgkmcnt(0)
	s_barrier
	s_and_saveexec_b64 s[14:15], vcc
	s_cbranch_execz .LBB0_15
; %bb.14:
	v_mul_u32_u24_e32 v23, 15, v0
	v_lshlrev_b32_e32 v38, 2, v23
	global_load_dwordx4 v[23:26], v38, s[12:13] offset:960
	global_load_dwordx4 v[27:30], v38, s[12:13] offset:992
	;; [unrolled: 1-line block ×3, first 2 shown]
	global_load_dwordx3 v[35:37], v38, s[12:13] offset:1008
	v_mul_lo_u32 v38, s1, v3
	v_mul_lo_u32 v39, s0, v4
	v_mad_u64_u32 v[3:4], s[0:1], s0, v3, 0
	v_mul_i32_i24_e32 v0, 0xffffffe2, v0
	v_add_u32_e32 v0, v5, v0
	ds_read_u16 v5, v0 offset:1024
	ds_read_u16 v40, v0 offset:4096
	;; [unrolled: 1-line block ×15, first 2 shown]
	ds_read_u16 v54, v0
	v_add3_u32 v4, v4, v39, v38
	v_lshlrev_b64 v[3:4], 2, v[3:4]
	v_lshlrev_b64 v[1:2], 2, v[1:2]
	s_waitcnt vmcnt(3) lgkmcnt(14)
	v_mul_f16_sdwa v0, v5, v24 dst_sel:DWORD dst_unused:UNUSED_PAD src0_sel:DWORD src1_sel:WORD_1
	s_waitcnt vmcnt(2) lgkmcnt(3)
	v_mul_f16_sdwa v38, v51, v28 dst_sel:DWORD dst_unused:UNUSED_PAD src0_sel:DWORD src1_sel:WORD_1
	s_waitcnt vmcnt(1)
	v_mul_f16_sdwa v39, v19, v32 dst_sel:DWORD dst_unused:UNUSED_PAD src0_sel:DWORD src1_sel:WORD_1
	s_waitcnt vmcnt(0)
	v_mul_f16_sdwa v55, v21, v36 dst_sel:DWORD dst_unused:UNUSED_PAD src0_sel:DWORD src1_sel:WORD_1
	v_mul_f16_sdwa v59, v42, v32 dst_sel:DWORD dst_unused:UNUSED_PAD src0_sel:DWORD src1_sel:WORD_1
	v_fma_f16 v39, v42, v32, v39
	v_mul_f16_sdwa v42, v47, v36 dst_sel:DWORD dst_unused:UNUSED_PAD src0_sel:DWORD src1_sel:WORD_1
	v_fma_f16 v60, v20, v24, -v0
	v_mul_f16_sdwa v0, v20, v24 dst_sel:DWORD dst_unused:UNUSED_PAD src0_sel:DWORD src1_sel:WORD_1
	v_fma_f16 v20, v22, v28, -v38
	v_mul_f16_sdwa v22, v22, v28 dst_sel:DWORD dst_unused:UNUSED_PAD src0_sel:DWORD src1_sel:WORD_1
	v_fma_f16 v38, v47, v36, v55
	v_fma_f16 v21, v21, v36, -v42
	v_mul_f16_sdwa v36, v18, v33 dst_sel:DWORD dst_unused:UNUSED_PAD src0_sel:DWORD src1_sel:WORD_1
	v_mul_f16_sdwa v47, v45, v25 dst_sel:DWORD dst_unused:UNUSED_PAD src0_sel:DWORD src1_sel:WORD_1
	v_fma_f16 v24, v24, v5, v0
	v_fma_f16 v5, v28, v51, v22
	;; [unrolled: 1-line block ×3, first 2 shown]
	v_mul_f16_sdwa v36, v41, v33 dst_sel:DWORD dst_unused:UNUSED_PAD src0_sel:DWORD src1_sel:WORD_1
	v_mul_f16_sdwa v56, v40, v34 dst_sel:DWORD dst_unused:UNUSED_PAD src0_sel:DWORD src1_sel:WORD_1
	;; [unrolled: 1-line block ×4, first 2 shown]
	s_waitcnt lgkmcnt(1)
	v_mul_f16_sdwa v22, v53, v23 dst_sel:DWORD dst_unused:UNUSED_PAD src0_sel:DWORD src1_sel:WORD_1
	v_fma_f16 v18, v18, v33, -v36
	v_fma_f16 v36, v17, v25, -v47
	v_mul_f16_sdwa v17, v17, v25 dst_sel:DWORD dst_unused:UNUSED_PAD src0_sel:DWORD src1_sel:WORD_1
	v_fma_f16 v17, v25, v45, v17
	v_fma_f16 v22, v16, v23, -v22
	v_mul_f16_sdwa v16, v16, v23 dst_sel:DWORD dst_unused:UNUSED_PAD src0_sel:DWORD src1_sel:WORD_1
	v_fma_f16 v41, v44, v26, v57
	v_mul_f16_sdwa v42, v44, v26 dst_sel:DWORD dst_unused:UNUSED_PAD src0_sel:DWORD src1_sel:WORD_1
	v_fma_f16 v44, v8, v34, -v56
	v_fma_f16 v45, v49, v30, v58
	v_fma_f16 v19, v19, v32, -v59
	v_mul_f16_sdwa v0, v14, v37 dst_sel:DWORD dst_unused:UNUSED_PAD src0_sel:DWORD src1_sel:WORD_1
	v_fma_f16 v16, v23, v53, v16
	v_fma_f16 v15, v15, v26, -v42
	v_sub_f16_e32 v20, v60, v20
	v_sub_f16_e32 v23, v39, v38
	;; [unrolled: 1-line block ×4, first 2 shown]
	v_fma_f16 v0, v46, v37, v0
	v_sub_f16_e32 v21, v19, v21
	v_sub_f16_e32 v42, v24, v5
	;; [unrolled: 1-line block ×5, first 2 shown]
	v_add_f16_e32 v51, v42, v21
	v_fma_f16 v0, v45, s5, v47
	v_mul_f16_sdwa v25, v11, v31 dst_sel:DWORD dst_unused:UNUSED_PAD src0_sel:DWORD src1_sel:WORD_1
	v_fma_f16 v55, v51, s4, v0
	v_mul_f16_sdwa v0, v12, v35 dst_sel:DWORD dst_unused:UNUSED_PAD src0_sel:DWORD src1_sel:WORD_1
	v_mul_f16_sdwa v32, v50, v29 dst_sel:DWORD dst_unused:UNUSED_PAD src0_sel:DWORD src1_sel:WORD_1
	;; [unrolled: 1-line block ×3, first 2 shown]
	v_fma_f16 v25, v43, v31, v25
	v_fma_f16 v0, v48, v35, v0
	v_fma_f16 v32, v13, v29, -v32
	v_fma_f16 v33, v10, v27, -v33
	v_sub_f16_e32 v56, v25, v0
	v_mul_f16_sdwa v0, v46, v37 dst_sel:DWORD dst_unused:UNUSED_PAD src0_sel:DWORD src1_sel:WORD_1
	v_mul_f16_sdwa v5, v13, v29 dst_sel:DWORD dst_unused:UNUSED_PAD src0_sel:DWORD src1_sel:WORD_1
	v_sub_f16_e32 v32, v36, v32
	v_sub_f16_e32 v33, v22, v33
	v_fma_f16 v0, v14, v37, -v0
	v_fma_f16 v5, v29, v50, v5
	v_sub_f16_e32 v53, v32, v44
	v_sub_f16_e32 v37, v33, v56
	;; [unrolled: 1-line block ×4, first 2 shown]
	v_mul_f16_sdwa v0, v48, v35 dst_sel:DWORD dst_unused:UNUSED_PAD src0_sel:DWORD src1_sel:WORD_1
	v_fma_f16 v13, v53, s5, v37
	v_fma_f16 v0, v12, v35, -v0
	v_add_f16_e32 v12, v46, v29
	v_fma_f16 v35, v12, s4, v13
	v_mul_f16_sdwa v13, v43, v31 dst_sel:DWORD dst_unused:UNUSED_PAD src0_sel:DWORD src1_sel:WORD_1
	v_fma_f16 v13, v11, v31, -v13
	v_sub_f16_e32 v31, v13, v0
	v_mul_f16_sdwa v0, v10, v27 dst_sel:DWORD dst_unused:UNUSED_PAD src0_sel:DWORD src1_sel:WORD_1
	v_fma_f16 v0, v27, v52, v0
	v_sub_f16_e32 v10, v16, v0
	v_add_f16_e32 v27, v10, v31
	v_fma_f16 v0, v12, s5, v27
	v_fma_f16 v5, v35, s9, v55
	;; [unrolled: 1-line block ×4, first 2 shown]
	v_mul_f16_sdwa v5, v49, v30 dst_sel:DWORD dst_unused:UNUSED_PAD src0_sel:DWORD src1_sel:WORD_1
	v_fma_f16 v5, v9, v30, -v5
	v_sub_f16_e32 v9, v15, v5
	v_mul_f16_sdwa v5, v8, v34 dst_sel:DWORD dst_unused:UNUSED_PAD src0_sel:DWORD src1_sel:WORD_1
	v_fma_f16 v5, v34, v40, v5
	v_fma_f16 v22, v22, 2.0, -v33
	v_fma_f16 v8, v13, 2.0, -v31
	s_waitcnt lgkmcnt(0)
	v_sub_f16_e32 v30, v54, v5
	v_sub_f16_e32 v31, v22, v8
	v_fma_f16 v13, v17, 2.0, -v46
	v_fma_f16 v8, v28, 2.0, -v44
	;; [unrolled: 1-line block ×4, first 2 shown]
	v_add_f16_e32 v34, v9, v30
	v_sub_f16_e32 v17, v13, v8
	v_sub_f16_e32 v48, v44, v6
	v_fma_f16 v6, v39, 2.0, -v23
	v_fma_f16 v36, v36, 2.0, -v32
	;; [unrolled: 1-line block ×6, first 2 shown]
	v_fma_f16 v5, v51, s5, v34
	v_fma_f16 v15, v24, 2.0, -v42
	v_sub_f16_e32 v18, v36, v8
	v_fma_f16 v16, v16, 2.0, -v10
	v_fma_f16 v8, v25, 2.0, -v56
	v_fma_f16 v9, v20, s4, v26
	v_fma_f16 v42, v42, 2.0, -v51
	v_fma_f16 v40, v45, s5, v5
	v_sub_f16_e32 v25, v16, v8
	v_fma_f16 v8, v19, 2.0, -v21
	v_fma_f16 v45, v42, s4, v9
	v_fma_f16 v33, v33, 2.0, -v37
	v_fma_f16 v9, v32, 2.0, -v53
	v_sub_f16_e32 v19, v39, v8
	v_fma_f16 v21, v54, 2.0, -v30
	v_fma_f16 v8, v41, 2.0, -v38
	v_fma_f16 v32, v9, s4, v33
	v_fma_f16 v12, v46, 2.0, -v12
	v_fma_f16 v49, v10, 2.0, -v27
	v_sub_f16_e32 v23, v15, v6
	v_sub_f16_e32 v38, v21, v8
	v_fma_f16 v32, v12, s4, v32
	v_fma_f16 v10, v12, s4, v49
	v_fma_f16 v44, v44, 2.0, -v48
	v_fma_f16 v12, v39, 2.0, -v19
	v_sub_f16_e32 v28, v31, v17
	v_sub_f16_e32 v39, v44, v12
	v_fma_f16 v53, v16, 2.0, -v25
	v_fma_f16 v12, v13, 2.0, -v17
	;; [unrolled: 1-line block ×6, first 2 shown]
	v_sub_f16_e32 v24, v48, v23
	v_add_f16_e32 v29, v18, v25
	v_sub_f16_e32 v23, v57, v13
	v_fma_f16 v13, v36, 2.0, -v18
	v_fma_f16 v15, v17, s8, v16
	v_fma_f16 v18, v27, 2.0, -v43
	v_add_f16_e32 v41, v19, v38
	v_fma_f16 v15, v18, s6, v15
	v_fma_f16 v19, v34, 2.0, -v40
	v_fma_f16 v27, v16, 2.0, -v15
	v_fma_f16 v16, v18, s8, v19
	v_fma_f16 v6, v28, s5, v24
	;; [unrolled: 1-line block ×4, first 2 shown]
	v_fma_f16 v30, v30, 2.0, -v34
	v_fma_f16 v34, v19, 2.0, -v16
	;; [unrolled: 1-line block ×4, first 2 shown]
	v_fma_f16 v8, v29, s5, v41
	v_fma_f16 v50, v9, s5, v10
	;; [unrolled: 1-line block ×3, first 2 shown]
	v_fma_f16 v51, v24, 2.0, -v6
	v_fma_f16 v17, v19, s4, v18
	v_fma_f16 v24, v25, 2.0, -v29
	v_fma_f16 v8, v28, s5, v8
	v_fma_f16 v20, v20, s5, v10
	;; [unrolled: 1-line block ×3, first 2 shown]
	v_fma_f16 v28, v38, 2.0, -v41
	v_fma_f16 v10, v50, s7, v20
	v_fma_f16 v25, v18, 2.0, -v17
	v_fma_f16 v18, v24, s4, v28
	v_fma_f16 v10, v32, s9, v10
	;; [unrolled: 1-line block ×3, first 2 shown]
	v_fma_f16 v29, v49, 2.0, -v50
	v_fma_f16 v30, v30, 2.0, -v20
	;; [unrolled: 1-line block ×6, first 2 shown]
	v_fma_f16 v20, v29, s6, v30
	v_sub_f16_e32 v22, v21, v13
	v_fma_f16 v26, v26, 2.0, -v45
	v_fma_f16 v20, v28, s7, v20
	v_add_f16_e32 v13, v23, v22
	v_fma_f16 v19, v28, s6, v26
	v_fma_f16 v28, v30, 2.0, -v20
	v_fma_f16 v30, v21, 2.0, -v22
	v_mad_u64_u32 v[21:22], s[0:1], s2, v7, 0
	v_sub_f16_e32 v54, v53, v12
	v_fma_f16 v36, v23, 2.0, -v13
	v_fma_f16 v31, v57, 2.0, -v23
	v_mad_u64_u32 v[22:23], s[0:1], s3, v7, v[22:23]
	v_fma_f16 v23, v53, 2.0, -v54
	v_fma_f16 v5, v43, s9, v40
	v_fma_f16 v46, v32, s7, v45
	v_sub_f16_e32 v32, v31, v23
	v_fma_f16 v5, v35, s7, v5
	v_fma_f16 v23, v31, 2.0, -v32
	v_mov_b32_e32 v31, s11
	v_add_co_u32_e32 v33, vcc, s10, v3
	v_or_b32_e32 v35, 0x100, v7
	v_addc_co_u32_e32 v31, vcc, v31, v4, vcc
	v_mad_u64_u32 v[3:4], s[0:1], s2, v35, 0
	v_add_co_u32_e32 v33, vcc, v33, v1
	v_fma_f16 v19, v29, s8, v19
	v_fma_f16 v29, v44, 2.0, -v39
	v_addc_co_u32_e32 v31, vcc, v31, v2, vcc
	v_lshlrev_b64 v[1:2], 2, v[21:22]
	v_mad_u64_u32 v[21:22], s[0:1], s3, v35, v[4:5]
	v_sub_f16_e32 v30, v29, v30
	v_fma_f16 v29, v29, 2.0, -v30
	v_add_co_u32_e32 v1, vcc, v33, v1
	v_addc_co_u32_e32 v2, vcc, v31, v2, vcc
	v_pack_b32_f16 v4, v29, v23
	global_store_dword v[1:2], v4, off
	v_mov_b32_e32 v4, v21
	v_or_b32_e32 v21, 0x200, v7
	v_lshlrev_b64 v[1:2], 2, v[3:4]
	v_mad_u64_u32 v[3:4], s[0:1], s2, v21, 0
	v_fma_f16 v26, v26, 2.0, -v19
	v_pack_b32_f16 v26, v26, v28
	v_mad_u64_u32 v[21:22], s[0:1], s3, v21, v[4:5]
	v_or_b32_e32 v28, 0x300, v7
	v_mad_u64_u32 v[22:23], s[0:1], s2, v28, 0
	v_add_co_u32_e32 v1, vcc, v33, v1
	v_addc_co_u32_e32 v2, vcc, v31, v2, vcc
	v_mov_b32_e32 v4, v21
	global_store_dword v[1:2], v26, off
	v_lshlrev_b64 v[1:2], 2, v[3:4]
	v_mov_b32_e32 v3, v23
	v_mad_u64_u32 v[3:4], s[0:1], s3, v28, v[3:4]
	v_add_co_u32_e32 v1, vcc, v33, v1
	v_addc_co_u32_e32 v2, vcc, v31, v2, vcc
	v_pack_b32_f16 v4, v25, v24
	v_or_b32_e32 v21, 0x400, v7
	global_store_dword v[1:2], v4, off
	v_mov_b32_e32 v23, v3
	v_mad_u64_u32 v[3:4], s[0:1], s2, v21, 0
	v_lshlrev_b64 v[1:2], 2, v[22:23]
	v_or_b32_e32 v25, 0x500, v7
	v_mad_u64_u32 v[21:22], s[0:1], s3, v21, v[4:5]
	v_mad_u64_u32 v[22:23], s[0:1], s2, v25, 0
	v_add_co_u32_e32 v1, vcc, v33, v1
	v_addc_co_u32_e32 v2, vcc, v31, v2, vcc
	v_pack_b32_f16 v24, v27, v34
	v_mov_b32_e32 v4, v21
	global_store_dword v[1:2], v24, off
	v_lshlrev_b64 v[1:2], 2, v[3:4]
	v_mov_b32_e32 v3, v23
	v_mad_u64_u32 v[3:4], s[0:1], s3, v25, v[3:4]
	v_sub_f16_e32 v12, v39, v54
	v_fma_f16 v56, v39, 2.0, -v12
	v_add_co_u32_e32 v1, vcc, v33, v1
	v_addc_co_u32_e32 v2, vcc, v31, v2, vcc
	v_pack_b32_f16 v4, v56, v36
	v_or_b32_e32 v21, 0x600, v7
	global_store_dword v[1:2], v4, off
	v_mov_b32_e32 v23, v3
	v_mad_u64_u32 v[3:4], s[0:1], s2, v21, 0
	v_lshlrev_b64 v[1:2], 2, v[22:23]
	v_or_b32_e32 v25, 0x700, v7
	v_mad_u64_u32 v[21:22], s[0:1], s3, v21, v[4:5]
	v_mad_u64_u32 v[22:23], s[0:1], s2, v25, 0
	v_fma_f16 v9, v50, s6, v46
	v_fma_f16 v46, v45, 2.0, -v9
	v_add_co_u32_e32 v1, vcc, v33, v1
	v_addc_co_u32_e32 v2, vcc, v31, v2, vcc
	v_pack_b32_f16 v24, v46, v42
	v_mov_b32_e32 v4, v21
	global_store_dword v[1:2], v24, off
	v_lshlrev_b64 v[1:2], 2, v[3:4]
	v_mov_b32_e32 v3, v23
	v_mad_u64_u32 v[3:4], s[0:1], s3, v25, v[3:4]
	v_fma_f16 v52, v41, 2.0, -v8
	v_add_co_u32_e32 v1, vcc, v33, v1
	v_addc_co_u32_e32 v2, vcc, v31, v2, vcc
	v_pack_b32_f16 v4, v51, v52
	v_or_b32_e32 v21, 0x800, v7
	global_store_dword v[1:2], v4, off
	v_mov_b32_e32 v23, v3
	v_mad_u64_u32 v[3:4], s[0:1], s2, v21, 0
	v_fma_f16 v11, v55, 2.0, -v0
	v_fma_f16 v14, v40, 2.0, -v5
	v_lshlrev_b64 v[1:2], 2, v[22:23]
	v_pack_b32_f16 v11, v11, v14
	v_mad_u64_u32 v[21:22], s[0:1], s3, v21, v[4:5]
	v_or_b32_e32 v14, 0x900, v7
	v_mad_u64_u32 v[22:23], s[0:1], s2, v14, 0
	v_add_co_u32_e32 v1, vcc, v33, v1
	v_addc_co_u32_e32 v2, vcc, v31, v2, vcc
	v_mov_b32_e32 v4, v21
	global_store_dword v[1:2], v11, off
	v_lshlrev_b64 v[1:2], 2, v[3:4]
	v_mov_b32_e32 v3, v23
	v_mad_u64_u32 v[3:4], s[0:1], s3, v14, v[3:4]
	v_add_co_u32_e32 v1, vcc, v33, v1
	v_addc_co_u32_e32 v2, vcc, v31, v2, vcc
	v_pack_b32_f16 v4, v30, v32
	v_or_b32_e32 v11, 0xa00, v7
	global_store_dword v[1:2], v4, off
	v_mov_b32_e32 v23, v3
	v_mad_u64_u32 v[3:4], s[0:1], s2, v11, 0
	v_pack_b32_f16 v14, v19, v20
	v_lshlrev_b64 v[1:2], 2, v[22:23]
	v_mad_u64_u32 v[19:20], s[0:1], s3, v11, v[4:5]
	v_or_b32_e32 v11, 0xb00, v7
	v_mad_u64_u32 v[20:21], s[0:1], s2, v11, 0
	v_add_co_u32_e32 v1, vcc, v33, v1
	v_addc_co_u32_e32 v2, vcc, v31, v2, vcc
	v_mov_b32_e32 v4, v19
	global_store_dword v[1:2], v14, off
	v_lshlrev_b64 v[1:2], 2, v[3:4]
	v_mov_b32_e32 v3, v21
	v_mad_u64_u32 v[3:4], s[0:1], s3, v11, v[3:4]
	v_add_co_u32_e32 v1, vcc, v33, v1
	v_addc_co_u32_e32 v2, vcc, v31, v2, vcc
	v_pack_b32_f16 v4, v17, v18
	v_or_b32_e32 v11, 0xc00, v7
	global_store_dword v[1:2], v4, off
	v_mov_b32_e32 v21, v3
	v_mad_u64_u32 v[3:4], s[0:1], s2, v11, 0
	v_pack_b32_f16 v17, v15, v16
	v_lshlrev_b64 v[1:2], 2, v[20:21]
	v_mad_u64_u32 v[14:15], s[0:1], s3, v11, v[4:5]
	v_or_b32_e32 v11, 0xd00, v7
	v_mad_u64_u32 v[15:16], s[0:1], s2, v11, 0
	v_add_co_u32_e32 v1, vcc, v33, v1
	v_addc_co_u32_e32 v2, vcc, v31, v2, vcc
	v_mov_b32_e32 v4, v14
	global_store_dword v[1:2], v17, off
	v_lshlrev_b64 v[1:2], 2, v[3:4]
	v_mov_b32_e32 v3, v16
	v_mad_u64_u32 v[3:4], s[0:1], s3, v11, v[3:4]
	v_add_co_u32_e32 v1, vcc, v33, v1
	v_addc_co_u32_e32 v2, vcc, v31, v2, vcc
	v_pack_b32_f16 v4, v12, v13
	v_or_b32_e32 v11, 0xe00, v7
	global_store_dword v[1:2], v4, off
	v_mov_b32_e32 v16, v3
	v_mad_u64_u32 v[3:4], s[0:1], s2, v11, 0
	v_pack_b32_f16 v12, v9, v10
	v_or_b32_e32 v7, 0xf00, v7
	v_mad_u64_u32 v[9:10], s[0:1], s3, v11, v[4:5]
	v_lshlrev_b64 v[1:2], 2, v[15:16]
	v_mad_u64_u32 v[10:11], s[0:1], s2, v7, 0
	v_add_co_u32_e32 v1, vcc, v33, v1
	v_addc_co_u32_e32 v2, vcc, v31, v2, vcc
	v_mov_b32_e32 v4, v9
	global_store_dword v[1:2], v12, off
	v_lshlrev_b64 v[1:2], 2, v[3:4]
	v_mov_b32_e32 v3, v11
	v_mad_u64_u32 v[3:4], s[0:1], s3, v7, v[3:4]
	v_add_co_u32_e32 v1, vcc, v33, v1
	v_addc_co_u32_e32 v2, vcc, v31, v2, vcc
	v_pack_b32_f16 v4, v6, v8
	v_mov_b32_e32 v11, v3
	global_store_dword v[1:2], v4, off
	v_lshlrev_b64 v[1:2], 2, v[10:11]
	v_pack_b32_f16 v0, v0, v5
	v_add_co_u32_e32 v1, vcc, v33, v1
	v_addc_co_u32_e32 v2, vcc, v31, v2, vcc
	global_store_dword v[1:2], v0, off
.LBB0_15:
	s_endpgm
	.section	.rodata,"a",@progbits
	.p2align	6, 0x0
	.amdhsa_kernel fft_rtc_fwd_len4096_factors_16_16_16_wgs_256_tpt_256_halfLds_half_op_CI_CI_sbrr_dirReg
		.amdhsa_group_segment_fixed_size 0
		.amdhsa_private_segment_fixed_size 0
		.amdhsa_kernarg_size 104
		.amdhsa_user_sgpr_count 6
		.amdhsa_user_sgpr_private_segment_buffer 1
		.amdhsa_user_sgpr_dispatch_ptr 0
		.amdhsa_user_sgpr_queue_ptr 0
		.amdhsa_user_sgpr_kernarg_segment_ptr 1
		.amdhsa_user_sgpr_dispatch_id 0
		.amdhsa_user_sgpr_flat_scratch_init 0
		.amdhsa_user_sgpr_private_segment_size 0
		.amdhsa_uses_dynamic_stack 0
		.amdhsa_system_sgpr_private_segment_wavefront_offset 0
		.amdhsa_system_sgpr_workgroup_id_x 1
		.amdhsa_system_sgpr_workgroup_id_y 0
		.amdhsa_system_sgpr_workgroup_id_z 0
		.amdhsa_system_sgpr_workgroup_info 0
		.amdhsa_system_vgpr_workitem_id 0
		.amdhsa_next_free_vgpr 61
		.amdhsa_next_free_sgpr 32
		.amdhsa_reserve_vcc 1
		.amdhsa_reserve_flat_scratch 0
		.amdhsa_float_round_mode_32 0
		.amdhsa_float_round_mode_16_64 0
		.amdhsa_float_denorm_mode_32 3
		.amdhsa_float_denorm_mode_16_64 3
		.amdhsa_dx10_clamp 1
		.amdhsa_ieee_mode 1
		.amdhsa_fp16_overflow 0
		.amdhsa_exception_fp_ieee_invalid_op 0
		.amdhsa_exception_fp_denorm_src 0
		.amdhsa_exception_fp_ieee_div_zero 0
		.amdhsa_exception_fp_ieee_overflow 0
		.amdhsa_exception_fp_ieee_underflow 0
		.amdhsa_exception_fp_ieee_inexact 0
		.amdhsa_exception_int_div_zero 0
	.end_amdhsa_kernel
	.text
.Lfunc_end0:
	.size	fft_rtc_fwd_len4096_factors_16_16_16_wgs_256_tpt_256_halfLds_half_op_CI_CI_sbrr_dirReg, .Lfunc_end0-fft_rtc_fwd_len4096_factors_16_16_16_wgs_256_tpt_256_halfLds_half_op_CI_CI_sbrr_dirReg
                                        ; -- End function
	.section	.AMDGPU.csdata,"",@progbits
; Kernel info:
; codeLenInByte = 8696
; NumSgprs: 36
; NumVgprs: 61
; ScratchSize: 0
; MemoryBound: 0
; FloatMode: 240
; IeeeMode: 1
; LDSByteSize: 0 bytes/workgroup (compile time only)
; SGPRBlocks: 4
; VGPRBlocks: 15
; NumSGPRsForWavesPerEU: 36
; NumVGPRsForWavesPerEU: 61
; Occupancy: 4
; WaveLimiterHint : 1
; COMPUTE_PGM_RSRC2:SCRATCH_EN: 0
; COMPUTE_PGM_RSRC2:USER_SGPR: 6
; COMPUTE_PGM_RSRC2:TRAP_HANDLER: 0
; COMPUTE_PGM_RSRC2:TGID_X_EN: 1
; COMPUTE_PGM_RSRC2:TGID_Y_EN: 0
; COMPUTE_PGM_RSRC2:TGID_Z_EN: 0
; COMPUTE_PGM_RSRC2:TIDIG_COMP_CNT: 0
	.type	__hip_cuid_fa62985e6324ec45,@object ; @__hip_cuid_fa62985e6324ec45
	.section	.bss,"aw",@nobits
	.globl	__hip_cuid_fa62985e6324ec45
__hip_cuid_fa62985e6324ec45:
	.byte	0                               ; 0x0
	.size	__hip_cuid_fa62985e6324ec45, 1

	.ident	"AMD clang version 19.0.0git (https://github.com/RadeonOpenCompute/llvm-project roc-6.4.0 25133 c7fe45cf4b819c5991fe208aaa96edf142730f1d)"
	.section	".note.GNU-stack","",@progbits
	.addrsig
	.addrsig_sym __hip_cuid_fa62985e6324ec45
	.amdgpu_metadata
---
amdhsa.kernels:
  - .args:
      - .actual_access:  read_only
        .address_space:  global
        .offset:         0
        .size:           8
        .value_kind:     global_buffer
      - .offset:         8
        .size:           8
        .value_kind:     by_value
      - .actual_access:  read_only
        .address_space:  global
        .offset:         16
        .size:           8
        .value_kind:     global_buffer
      - .actual_access:  read_only
        .address_space:  global
        .offset:         24
        .size:           8
        .value_kind:     global_buffer
      - .actual_access:  read_only
        .address_space:  global
        .offset:         32
        .size:           8
        .value_kind:     global_buffer
      - .offset:         40
        .size:           8
        .value_kind:     by_value
      - .actual_access:  read_only
        .address_space:  global
        .offset:         48
        .size:           8
        .value_kind:     global_buffer
      - .actual_access:  read_only
        .address_space:  global
        .offset:         56
        .size:           8
        .value_kind:     global_buffer
      - .offset:         64
        .size:           4
        .value_kind:     by_value
      - .actual_access:  read_only
        .address_space:  global
        .offset:         72
        .size:           8
        .value_kind:     global_buffer
      - .actual_access:  read_only
        .address_space:  global
        .offset:         80
        .size:           8
        .value_kind:     global_buffer
      - .actual_access:  read_only
        .address_space:  global
        .offset:         88
        .size:           8
        .value_kind:     global_buffer
      - .actual_access:  write_only
        .address_space:  global
        .offset:         96
        .size:           8
        .value_kind:     global_buffer
    .group_segment_fixed_size: 0
    .kernarg_segment_align: 8
    .kernarg_segment_size: 104
    .language:       OpenCL C
    .language_version:
      - 2
      - 0
    .max_flat_workgroup_size: 256
    .name:           fft_rtc_fwd_len4096_factors_16_16_16_wgs_256_tpt_256_halfLds_half_op_CI_CI_sbrr_dirReg
    .private_segment_fixed_size: 0
    .sgpr_count:     36
    .sgpr_spill_count: 0
    .symbol:         fft_rtc_fwd_len4096_factors_16_16_16_wgs_256_tpt_256_halfLds_half_op_CI_CI_sbrr_dirReg.kd
    .uniform_work_group_size: 1
    .uses_dynamic_stack: false
    .vgpr_count:     61
    .vgpr_spill_count: 0
    .wavefront_size: 64
amdhsa.target:   amdgcn-amd-amdhsa--gfx906
amdhsa.version:
  - 1
  - 2
...

	.end_amdgpu_metadata
